;; amdgpu-corpus repo=ROCm/rocFFT kind=compiled arch=gfx906 opt=O3
	.text
	.amdgcn_target "amdgcn-amd-amdhsa--gfx906"
	.amdhsa_code_object_version 6
	.protected	bluestein_single_back_len1344_dim1_dp_op_CI_CI ; -- Begin function bluestein_single_back_len1344_dim1_dp_op_CI_CI
	.globl	bluestein_single_back_len1344_dim1_dp_op_CI_CI
	.p2align	8
	.type	bluestein_single_back_len1344_dim1_dp_op_CI_CI,@function
bluestein_single_back_len1344_dim1_dp_op_CI_CI: ; @bluestein_single_back_len1344_dim1_dp_op_CI_CI
; %bb.0:
	s_load_dwordx4 s[16:19], s[4:5], 0x28
	v_mul_u32_u24_e32 v1, 0x125, v0
	v_add_u32_sdwa v112, s6, v1 dst_sel:DWORD dst_unused:UNUSED_PAD src0_sel:DWORD src1_sel:WORD_1
	v_mov_b32_e32 v113, 0
	s_waitcnt lgkmcnt(0)
	v_cmp_gt_u64_e32 vcc, s[16:17], v[112:113]
	s_and_saveexec_b64 s[0:1], vcc
	s_cbranch_execz .LBB0_10
; %bb.1:
	s_load_dwordx4 s[0:3], s[4:5], 0x18
	s_load_dwordx4 s[12:15], s[4:5], 0x0
	v_mov_b32_e32 v12, 0xffffe400
	s_load_dwordx2 s[4:5], s[4:5], 0x38
                                        ; implicit-def: $vgpr108_vgpr109
	s_waitcnt lgkmcnt(0)
	s_load_dwordx4 s[8:11], s[0:1], 0x0
	s_movk_i32 s0, 0xe0
	v_mul_lo_u16_sdwa v1, v1, s0 dst_sel:DWORD dst_unused:UNUSED_PAD src0_sel:WORD_1 src1_sel:DWORD
	v_sub_u16_e32 v142, v0, v1
	v_lshlrev_b32_e32 v141, 4, v142
	s_waitcnt lgkmcnt(0)
	v_mad_u64_u32 v[0:1], s[0:1], s10, v112, 0
	v_mad_u64_u32 v[2:3], s[0:1], s8, v142, 0
	s_mul_i32 s7, s8, 0x2a00
	s_movk_i32 s10, 0x3000
	v_mad_u64_u32 v[4:5], s[0:1], s11, v112, v[1:2]
	v_lshlrev_b32_e32 v144, 5, v142
	v_add_u32_e32 v60, 0xe0, v142
	v_mad_u64_u32 v[5:6], s[0:1], s9, v142, v[3:4]
	v_mov_b32_e32 v1, v4
	v_lshlrev_b64 v[0:1], 4, v[0:1]
	v_mov_b32_e32 v6, s19
	v_mov_b32_e32 v3, v5
	v_add_co_u32_e32 v4, vcc, s18, v0
	v_addc_co_u32_e32 v5, vcc, v6, v1, vcc
	v_lshlrev_b64 v[0:1], 4, v[2:3]
	v_mov_b32_e32 v2, s13
	v_add_co_u32_e32 v0, vcc, v4, v0
	v_addc_co_u32_e32 v1, vcc, v5, v1, vcc
	v_add_co_u32_e32 v143, vcc, s12, v141
	v_addc_co_u32_e64 v46, s[0:1], 0, v2, vcc
	s_mul_i32 s0, s9, 0x2a00
	s_mul_hi_u32 s1, s8, 0x2a00
	s_add_i32 s6, s1, s0
	v_mov_b32_e32 v3, s6
	v_add_co_u32_e64 v2, s[0:1], s7, v0
	v_addc_co_u32_e64 v3, s[0:1], v1, v3, s[0:1]
	s_movk_i32 s0, 0x2000
	global_load_dwordx4 v[24:27], v[0:1], off
	global_load_dwordx4 v[28:31], v[2:3], off
	v_add_co_u32_e64 v0, s[0:1], s0, v143
	v_addc_co_u32_e64 v1, s[0:1], 0, v46, s[0:1]
	v_mad_u64_u32 v[8:9], s[0:1], s8, v12, v[2:3]
	s_mul_i32 s0, s9, 0xffffe400
	s_sub_i32 s9, s0, s8
	v_add_u32_e32 v9, s9, v9
	v_mov_b32_e32 v11, s6
	v_add_co_u32_e64 v10, s[0:1], s7, v8
	v_addc_co_u32_e64 v11, s[0:1], v9, v11, s[0:1]
	v_mad_u64_u32 v[16:17], s[0:1], s8, v12, v[10:11]
	v_add_co_u32_e64 v18, s[0:1], s10, v143
	v_addc_co_u32_e64 v19, s[0:1], 0, v46, s[0:1]
	global_load_dwordx4 v[0:3], v[0:1], off offset:2560
	s_nop 0
	global_load_dwordx4 v[20:23], v141, s[12:13]
	global_load_dwordx4 v[4:7], v141, s[12:13] offset:3584
	s_movk_i32 s0, 0x1000
	v_add_co_u32_e64 v44, s[0:1], s0, v143
	v_addc_co_u32_e64 v45, s[0:1], 0, v46, s[0:1]
	global_load_dwordx4 v[32:35], v[10:11], off
	v_add_u32_e32 v17, s9, v17
	global_load_dwordx4 v[36:39], v[8:9], off
	global_load_dwordx4 v[40:43], v[16:17], off
	s_nop 0
	global_load_dwordx4 v[8:11], v[18:19], off offset:2048
	global_load_dwordx4 v[12:15], v[44:45], off offset:3072
	v_mov_b32_e32 v18, s6
	v_add_co_u32_e64 v48, s[0:1], s7, v16
	v_addc_co_u32_e64 v49, s[0:1], v17, v18, s[0:1]
	s_movk_i32 s0, 0x4000
	v_add_co_u32_e64 v50, s[0:1], s0, v143
	v_addc_co_u32_e64 v51, s[0:1], 0, v46, s[0:1]
	global_load_dwordx4 v[16:19], v[50:51], off offset:1536
	global_load_dwordx4 v[44:47], v[48:49], off
	s_load_dwordx4 s[8:11], s[2:3], 0x0
	v_lshlrev_b32_e32 v145, 5, v60
	s_movk_i32 s0, 0x1fc
	s_movk_i32 s1, 0x3fc
	;; [unrolled: 1-line block ×3, first 2 shown]
	v_and_b32_e32 v73, 3, v142
	v_lshlrev_b32_e32 v69, 4, v73
	v_and_b32_e32 v81, 15, v142
	v_lshlrev_b32_e32 v77, 4, v81
	;; [unrolled: 2-line block ×3, first 2 shown]
	s_mov_b32 s3, 0xbfebb67a
	s_movk_i32 s6, 0xc0
	s_waitcnt vmcnt(8)
	v_mul_f64 v[48:49], v[26:27], v[22:23]
	v_mul_f64 v[50:51], v[24:25], v[22:23]
	;; [unrolled: 1-line block ×4, first 2 shown]
	s_waitcnt vmcnt(5)
	v_mul_f64 v[56:57], v[38:39], v[6:7]
	v_mul_f64 v[58:59], v[36:37], v[6:7]
	s_waitcnt vmcnt(3)
	v_mul_f64 v[61:62], v[34:35], v[10:11]
	v_mul_f64 v[63:64], v[32:33], v[10:11]
	v_fma_f64 v[24:25], v[24:25], v[20:21], v[48:49]
	v_fma_f64 v[26:27], v[26:27], v[20:21], -v[50:51]
	s_waitcnt vmcnt(2)
	v_mul_f64 v[48:49], v[42:43], v[14:15]
	v_mul_f64 v[50:51], v[40:41], v[14:15]
	v_fma_f64 v[28:29], v[28:29], v[0:1], v[52:53]
	v_fma_f64 v[30:31], v[30:31], v[0:1], -v[54:55]
	v_fma_f64 v[36:37], v[36:37], v[4:5], v[56:57]
	v_fma_f64 v[38:39], v[38:39], v[4:5], -v[58:59]
	v_fma_f64 v[32:33], v[32:33], v[8:9], v[61:62]
	s_waitcnt vmcnt(0)
	v_mul_f64 v[52:53], v[46:47], v[18:19]
	v_mul_f64 v[54:55], v[44:45], v[18:19]
	v_fma_f64 v[34:35], v[34:35], v[8:9], -v[63:64]
	v_fma_f64 v[40:41], v[40:41], v[12:13], v[48:49]
	v_fma_f64 v[42:43], v[42:43], v[12:13], -v[50:51]
	v_and_b32_e32 v59, 1, v142
	v_fma_f64 v[48:49], v[44:45], v[16:17], v[52:53]
	v_fma_f64 v[50:51], v[46:47], v[16:17], -v[54:55]
	ds_write_b128 v141, v[24:27]
	ds_write_b128 v141, v[28:31] offset:10752
	ds_write_b128 v141, v[36:39] offset:3584
	;; [unrolled: 1-line block ×5, first 2 shown]
	s_waitcnt lgkmcnt(0)
	s_barrier
	ds_read_b128 v[24:27], v141 offset:10752
	ds_read_b128 v[28:31], v141
	ds_read_b128 v[32:35], v141 offset:3584
	ds_read_b128 v[36:39], v141 offset:14336
	ds_read_b128 v[40:43], v141 offset:7168
	ds_read_b128 v[45:48], v141 offset:17920
	s_waitcnt lgkmcnt(4)
	v_add_f64 v[24:25], v[28:29], -v[24:25]
	v_add_f64 v[26:27], v[30:31], -v[26:27]
	s_waitcnt lgkmcnt(2)
	v_add_f64 v[36:37], v[32:33], -v[36:37]
	v_add_f64 v[38:39], v[34:35], -v[38:39]
	;; [unrolled: 3-line block ×3, first 2 shown]
	v_lshlrev_b32_e32 v44, 1, v142
	v_fma_f64 v[28:29], v[28:29], 2.0, -v[24:25]
	v_fma_f64 v[30:31], v[30:31], 2.0, -v[26:27]
	;; [unrolled: 1-line block ×6, first 2 shown]
	s_barrier
	ds_write_b128 v144, v[24:27] offset:16
	ds_write_b128 v144, v[28:31]
	v_add_u32_e32 v45, 0x380, v44
	v_lshlrev_b32_e32 v24, 4, v44
	ds_write_b128 v144, v[32:35] offset:7168
	ds_write_b128 v145, v[36:39] offset:16
	v_lshlrev_b32_e32 v146, 4, v45
	ds_write_b128 v24, v[40:43] offset:14336
	ds_write_b128 v146, v[49:52] offset:16
	v_lshlrev_b32_e32 v24, 4, v59
	s_waitcnt lgkmcnt(0)
	s_barrier
	global_load_dwordx4 v[24:27], v24, s[14:15]
	ds_read_b128 v[28:31], v141 offset:10752
	v_and_or_b32 v32, v44, s0, v59
	v_lshlrev_b32_e32 v147, 4, v32
	ds_read_b128 v[32:35], v141 offset:14336
	ds_read_b128 v[36:39], v141 offset:7168
	;; [unrolled: 1-line block ×3, first 2 shown]
	ds_read_b128 v[47:50], v141
	ds_read_b128 v[51:54], v141 offset:3584
	v_lshlrev_b32_e32 v46, 1, v60
	s_waitcnt vmcnt(0) lgkmcnt(0)
	s_barrier
	s_movk_i32 s0, 0x1f8
	v_mul_f64 v[55:56], v[30:31], v[26:27]
	v_mul_f64 v[57:58], v[28:29], v[26:27]
	;; [unrolled: 1-line block ×6, first 2 shown]
	v_fma_f64 v[28:29], v[28:29], v[24:25], -v[55:56]
	v_fma_f64 v[30:31], v[30:31], v[24:25], v[57:58]
	v_fma_f64 v[32:33], v[32:33], v[24:25], -v[61:62]
	v_fma_f64 v[34:35], v[34:35], v[24:25], v[63:64]
	;; [unrolled: 2-line block ×3, first 2 shown]
	v_and_or_b32 v55, v46, s1, v59
	v_and_or_b32 v56, v45, s2, v59
	v_add_f64 v[28:29], v[47:48], -v[28:29]
	v_add_f64 v[30:31], v[49:50], -v[30:31]
	v_add_f64 v[32:33], v[51:52], -v[32:33]
	v_add_f64 v[34:35], v[53:54], -v[34:35]
	v_add_f64 v[40:41], v[36:37], -v[40:41]
	v_add_f64 v[42:43], v[38:39], -v[42:43]
	v_lshlrev_b32_e32 v149, 4, v55
	v_lshlrev_b32_e32 v148, 4, v56
	v_fma_f64 v[47:48], v[47:48], 2.0, -v[28:29]
	v_fma_f64 v[49:50], v[49:50], 2.0, -v[30:31]
	;; [unrolled: 1-line block ×6, first 2 shown]
	ds_write_b128 v147, v[28:31] offset:32
	ds_write_b128 v147, v[47:50]
	ds_write_b128 v149, v[51:54]
	ds_write_b128 v149, v[32:35] offset:32
	ds_write_b128 v148, v[36:39]
	ds_write_b128 v148, v[40:43] offset:32
	s_waitcnt lgkmcnt(0)
	s_barrier
	global_load_dwordx4 v[28:31], v69, s[14:15] offset:32
	ds_read_b128 v[32:35], v141 offset:10752
	v_and_or_b32 v36, v44, s0, v73
	v_lshlrev_b32_e32 v150, 4, v36
	ds_read_b128 v[36:39], v141 offset:14336
	ds_read_b128 v[40:43], v141 offset:7168
	;; [unrolled: 1-line block ×3, first 2 shown]
	ds_read_b128 v[51:54], v141
	ds_read_b128 v[55:58], v141 offset:3584
	s_movk_i32 s1, 0x3f8
	s_movk_i32 s2, 0x7f8
	v_and_b32_e32 v59, 7, v142
	v_lshlrev_b32_e32 v74, 4, v59
	s_waitcnt vmcnt(0) lgkmcnt(0)
	s_barrier
	s_movk_i32 s0, 0x1f0
	v_mul_f64 v[61:62], v[34:35], v[30:31]
	v_mul_f64 v[63:64], v[32:33], v[30:31]
	;; [unrolled: 1-line block ×6, first 2 shown]
	v_fma_f64 v[32:33], v[32:33], v[28:29], -v[61:62]
	v_fma_f64 v[34:35], v[34:35], v[28:29], v[63:64]
	v_fma_f64 v[36:37], v[36:37], v[28:29], -v[65:66]
	v_fma_f64 v[38:39], v[38:39], v[28:29], v[67:68]
	;; [unrolled: 2-line block ×3, first 2 shown]
	v_and_or_b32 v61, v46, s1, v73
	v_and_or_b32 v62, v45, s2, v73
	v_add_f64 v[32:33], v[51:52], -v[32:33]
	v_add_f64 v[34:35], v[53:54], -v[34:35]
	;; [unrolled: 1-line block ×6, first 2 shown]
	v_lshlrev_b32_e32 v152, 4, v61
	v_lshlrev_b32_e32 v151, 4, v62
	v_fma_f64 v[51:52], v[51:52], 2.0, -v[32:33]
	v_fma_f64 v[53:54], v[53:54], 2.0, -v[34:35]
	;; [unrolled: 1-line block ×6, first 2 shown]
	ds_write_b128 v150, v[32:35] offset:64
	ds_write_b128 v150, v[51:54]
	ds_write_b128 v152, v[55:58]
	ds_write_b128 v152, v[36:39] offset:64
	ds_write_b128 v151, v[40:43]
	ds_write_b128 v151, v[47:50] offset:64
	s_waitcnt lgkmcnt(0)
	s_barrier
	global_load_dwordx4 v[32:35], v74, s[14:15] offset:96
	ds_read_b128 v[36:39], v141 offset:10752
	v_and_or_b32 v40, v44, s0, v59
	v_lshlrev_b32_e32 v153, 4, v40
	ds_read_b128 v[40:43], v141 offset:14336
	ds_read_b128 v[47:50], v141 offset:7168
	;; [unrolled: 1-line block ×3, first 2 shown]
	ds_read_b128 v[55:58], v141
	ds_read_b128 v[61:64], v141 offset:3584
	s_movk_i32 s1, 0x3f0
	s_movk_i32 s2, 0x7f0
	s_waitcnt vmcnt(0) lgkmcnt(0)
	s_barrier
	s_movk_i32 s0, 0x1e0
	v_mul_f64 v[65:66], v[38:39], v[34:35]
	v_mul_f64 v[67:68], v[36:37], v[34:35]
	;; [unrolled: 1-line block ×6, first 2 shown]
	v_fma_f64 v[36:37], v[36:37], v[32:33], -v[65:66]
	v_fma_f64 v[38:39], v[38:39], v[32:33], v[67:68]
	v_fma_f64 v[40:41], v[40:41], v[32:33], -v[69:70]
	v_fma_f64 v[42:43], v[42:43], v[32:33], v[71:72]
	;; [unrolled: 2-line block ×3, first 2 shown]
	v_and_or_b32 v65, v46, s1, v59
	v_and_or_b32 v59, v45, s2, v59
	v_add_f64 v[36:37], v[55:56], -v[36:37]
	v_add_f64 v[38:39], v[57:58], -v[38:39]
	;; [unrolled: 1-line block ×6, first 2 shown]
	v_lshlrev_b32_e32 v155, 4, v65
	v_lshlrev_b32_e32 v154, 4, v59
	v_fma_f64 v[55:56], v[55:56], 2.0, -v[36:37]
	v_fma_f64 v[57:58], v[57:58], 2.0, -v[38:39]
	;; [unrolled: 1-line block ×6, first 2 shown]
	ds_write_b128 v153, v[36:39] offset:128
	ds_write_b128 v153, v[55:58]
	ds_write_b128 v155, v[61:64]
	ds_write_b128 v155, v[40:43] offset:128
	ds_write_b128 v154, v[47:50]
	ds_write_b128 v154, v[51:54] offset:128
	s_waitcnt lgkmcnt(0)
	s_barrier
	global_load_dwordx4 v[36:39], v77, s[14:15] offset:224
	ds_read_b128 v[40:43], v141 offset:10752
	v_and_or_b32 v47, v44, s0, v81
	v_lshlrev_b32_e32 v156, 4, v47
	ds_read_b128 v[47:50], v141 offset:14336
	ds_read_b128 v[51:54], v141 offset:7168
	;; [unrolled: 1-line block ×3, first 2 shown]
	ds_read_b128 v[61:64], v141
	ds_read_b128 v[65:68], v141 offset:3584
	s_movk_i32 s1, 0x3e0
	s_movk_i32 s2, 0x7e0
	v_and_b32_e32 v59, 31, v142
	v_lshlrev_b32_e32 v82, 4, v59
	s_waitcnt vmcnt(0) lgkmcnt(0)
	s_barrier
	s_movk_i32 s0, 0x1c0
	v_and_or_b32 v44, v44, s0, v59
	v_lshlrev_b32_e32 v159, 4, v44
	v_mul_f64 v[69:70], v[42:43], v[38:39]
	v_mul_f64 v[71:72], v[40:41], v[38:39]
	;; [unrolled: 1-line block ×6, first 2 shown]
	v_fma_f64 v[40:41], v[40:41], v[36:37], -v[69:70]
	v_fma_f64 v[42:43], v[42:43], v[36:37], v[71:72]
	v_fma_f64 v[47:48], v[47:48], v[36:37], -v[73:74]
	v_fma_f64 v[49:50], v[49:50], v[36:37], v[75:76]
	;; [unrolled: 2-line block ×3, first 2 shown]
	v_and_or_b32 v69, v46, s1, v81
	v_and_or_b32 v70, v45, s2, v81
	v_add_f64 v[40:41], v[61:62], -v[40:41]
	v_add_f64 v[42:43], v[63:64], -v[42:43]
	;; [unrolled: 1-line block ×6, first 2 shown]
	v_lshlrev_b32_e32 v158, 4, v69
	v_lshlrev_b32_e32 v157, 4, v70
	v_fma_f64 v[61:62], v[61:62], 2.0, -v[40:41]
	v_fma_f64 v[63:64], v[63:64], 2.0, -v[42:43]
	;; [unrolled: 1-line block ×6, first 2 shown]
	ds_write_b128 v156, v[40:43] offset:256
	ds_write_b128 v156, v[61:64]
	ds_write_b128 v158, v[65:68]
	ds_write_b128 v158, v[47:50] offset:256
	ds_write_b128 v157, v[51:54]
	ds_write_b128 v157, v[55:58] offset:256
	s_waitcnt lgkmcnt(0)
	s_barrier
	global_load_dwordx4 v[40:43], v82, s[14:15] offset:480
	ds_read_b128 v[47:50], v141 offset:10752
	ds_read_b128 v[51:54], v141 offset:14336
	ds_read_b128 v[55:58], v141 offset:7168
	ds_read_b128 v[61:64], v141 offset:17920
	ds_read_b128 v[65:68], v141
	ds_read_b128 v[69:72], v141 offset:3584
	s_movk_i32 s1, 0x3c0
	s_movk_i32 s2, 0x7c0
	s_waitcnt vmcnt(0) lgkmcnt(0)
	s_barrier
	v_mul_f64 v[73:74], v[49:50], v[42:43]
	v_mul_f64 v[75:76], v[47:48], v[42:43]
	v_mul_f64 v[77:78], v[53:54], v[42:43]
	v_mul_f64 v[79:80], v[51:52], v[42:43]
	v_mul_f64 v[81:82], v[63:64], v[42:43]
	v_mul_f64 v[83:84], v[61:62], v[42:43]
	v_fma_f64 v[47:48], v[47:48], v[40:41], -v[73:74]
	v_fma_f64 v[49:50], v[49:50], v[40:41], v[75:76]
	v_fma_f64 v[51:52], v[51:52], v[40:41], -v[77:78]
	v_fma_f64 v[53:54], v[53:54], v[40:41], v[79:80]
	;; [unrolled: 2-line block ×3, first 2 shown]
	v_and_or_b32 v73, v46, s1, v59
	v_and_or_b32 v59, v45, s2, v59
	v_add_f64 v[44:45], v[65:66], -v[47:48]
	v_add_f64 v[46:47], v[67:68], -v[49:50]
	;; [unrolled: 1-line block ×6, first 2 shown]
	v_lshlrev_b32_e32 v162, 4, v73
	v_lshlrev_b32_e32 v161, 4, v59
	v_fma_f64 v[65:66], v[65:66], 2.0, -v[44:45]
	v_fma_f64 v[67:68], v[67:68], 2.0, -v[46:47]
	;; [unrolled: 1-line block ×6, first 2 shown]
	ds_write_b128 v159, v[44:47] offset:512
	ds_write_b128 v159, v[65:68]
	ds_write_b128 v162, v[69:72]
	ds_write_b128 v162, v[48:51] offset:512
	ds_write_b128 v161, v[52:55]
	ds_write_b128 v161, v[61:64] offset:512
	v_and_b32_e32 v61, 63, v60
	v_lshlrev_b32_e32 v62, 5, v61
	s_waitcnt lgkmcnt(0)
	s_barrier
	global_load_dwordx4 v[44:47], v86, s[14:15] offset:992
	global_load_dwordx4 v[52:55], v86, s[14:15] offset:1008
	;; [unrolled: 1-line block ×4, first 2 shown]
	v_lshrrev_b32_e32 v62, 6, v142
	v_lshrrev_b32_e32 v60, 6, v60
	v_mul_u32_u24_e32 v62, 0xc0, v62
	v_mul_u32_u24_e32 v60, 0xc0, v60
	v_or_b32_e32 v62, v62, v85
	v_or_b32_e32 v64, v60, v61
	v_lshlrev_b32_e32 v163, 4, v62
	ds_read_b128 v[60:63], v141 offset:7168
	v_lshlrev_b32_e32 v160, 4, v64
	ds_read_b128 v[64:67], v141 offset:14336
	ds_read_b128 v[68:71], v141 offset:10752
	ds_read_b128 v[72:75], v141 offset:17920
	s_mov_b32 s0, 0xe8584caa
	s_mov_b32 s1, 0x3febb67a
	s_mov_b32 s2, s0
	s_waitcnt vmcnt(3) lgkmcnt(3)
	v_mul_f64 v[76:77], v[62:63], v[46:47]
	v_mul_f64 v[78:79], v[60:61], v[46:47]
	s_waitcnt vmcnt(2) lgkmcnt(2)
	v_mul_f64 v[80:81], v[66:67], v[54:55]
	v_mul_f64 v[82:83], v[64:65], v[54:55]
	;; [unrolled: 3-line block ×4, first 2 shown]
	v_fma_f64 v[76:77], v[60:61], v[44:45], -v[76:77]
	v_fma_f64 v[78:79], v[62:63], v[44:45], v[78:79]
	v_fma_f64 v[80:81], v[64:65], v[52:53], -v[80:81]
	v_fma_f64 v[82:83], v[66:67], v[52:53], v[82:83]
	;; [unrolled: 2-line block ×4, first 2 shown]
	ds_read_b128 v[60:63], v141
	ds_read_b128 v[64:67], v141 offset:3584
	s_waitcnt lgkmcnt(0)
	v_add_f64 v[84:85], v[76:77], v[80:81]
	v_add_f64 v[86:87], v[78:79], v[82:83]
	;; [unrolled: 1-line block ×6, first 2 shown]
	v_add_f64 v[78:79], v[78:79], -v[82:83]
	v_add_f64 v[76:77], v[76:77], -v[80:81]
	v_add_f64 v[96:97], v[66:67], v[70:71]
	v_add_f64 v[100:101], v[64:65], v[68:69]
	v_add_f64 v[70:71], v[70:71], -v[74:75]
	v_add_f64 v[68:69], v[68:69], -v[72:73]
	v_fma_f64 v[60:61], v[84:85], -0.5, v[60:61]
	v_fma_f64 v[62:63], v[86:87], -0.5, v[62:63]
	;; [unrolled: 1-line block ×4, first 2 shown]
	v_add_f64 v[86:87], v[88:89], v[82:83]
	v_add_f64 v[84:85], v[90:91], v[80:81]
	;; [unrolled: 1-line block ×4, first 2 shown]
	v_fma_f64 v[88:89], v[78:79], s[0:1], v[60:61]
	v_fma_f64 v[92:93], v[78:79], s[2:3], v[60:61]
	;; [unrolled: 1-line block ×8, first 2 shown]
	v_cmp_gt_u16_e64 s[0:1], s6, v142
	s_barrier
	ds_write_b128 v163, v[84:87]
	ds_write_b128 v163, v[88:91] offset:1024
	ds_write_b128 v163, v[92:95] offset:2048
	ds_write_b128 v160, v[96:99]
	ds_write_b128 v160, v[100:103] offset:1024
	ds_write_b128 v160, v[104:107] offset:2048
	s_waitcnt lgkmcnt(0)
	s_barrier
	s_and_saveexec_b64 s[2:3], s[0:1]
	s_cbranch_execz .LBB0_3
; %bb.2:
	ds_read_b128 v[84:87], v141
	ds_read_b128 v[88:91], v141 offset:3072
	ds_read_b128 v[92:95], v141 offset:6144
	;; [unrolled: 1-line block ×6, first 2 shown]
.LBB0_3:
	s_or_b64 exec, exec, s[2:3]
	v_add_u32_e32 v60, 0xffffff40, v142
	v_cndmask_b32_e64 v60, v60, v142, s[0:1]
	v_mul_hi_i32_i24_e32 v61, 0x60, v60
	v_mul_i32_i24_e32 v60, 0x60, v60
	v_mov_b32_e32 v62, s15
	v_add_co_u32_e64 v80, s[2:3], s14, v60
	v_addc_co_u32_e64 v81, s[2:3], v62, v61, s[2:3]
	global_load_dwordx4 v[68:71], v[80:81], off offset:3040
	global_load_dwordx4 v[72:75], v[80:81], off offset:3056
	;; [unrolled: 1-line block ×5, first 2 shown]
	s_nop 0
	global_load_dwordx4 v[80:83], v[80:81], off offset:3104
	s_mov_b32 s2, 0x37e14327
	s_mov_b32 s16, 0xb247c609
	;; [unrolled: 1-line block ×10, first 2 shown]
	s_waitcnt vmcnt(5) lgkmcnt(5)
	v_mul_f64 v[113:114], v[90:91], v[70:71]
	v_mul_f64 v[115:116], v[88:89], v[70:71]
	s_waitcnt vmcnt(4) lgkmcnt(4)
	v_mul_f64 v[117:118], v[94:95], v[74:75]
	v_mul_f64 v[119:120], v[92:93], v[74:75]
	;; [unrolled: 3-line block ×3, first 2 shown]
	s_waitcnt vmcnt(0)
	v_mul_f64 v[133:134], v[106:107], v[82:83]
	v_mul_f64 v[135:136], v[104:105], v[82:83]
	;; [unrolled: 1-line block ×6, first 2 shown]
	v_fma_f64 v[88:89], v[88:89], v[68:69], -v[113:114]
	v_fma_f64 v[90:91], v[90:91], v[68:69], v[115:116]
	v_fma_f64 v[92:93], v[92:93], v[72:73], -v[117:118]
	v_fma_f64 v[94:95], v[94:95], v[72:73], v[119:120]
	;; [unrolled: 2-line block ×6, first 2 shown]
	v_add_f64 v[100:101], v[88:89], v[108:109]
	v_add_f64 v[113:114], v[90:91], v[110:111]
	;; [unrolled: 1-line block ×4, first 2 shown]
	v_add_f64 v[125:126], v[88:89], -v[108:109]
	v_add_f64 v[102:103], v[90:91], -v[110:111]
	v_add_f64 v[88:89], v[96:97], v[119:120]
	v_add_f64 v[90:91], v[98:99], v[121:122]
	v_add_f64 v[129:130], v[92:93], -v[115:116]
	v_add_f64 v[106:107], v[94:95], -v[106:107]
	;; [unrolled: 1-line block ×4, first 2 shown]
	v_add_f64 v[96:97], v[104:105], v[100:101]
	v_add_f64 v[98:99], v[117:118], v[113:114]
	v_add_f64 v[108:109], v[100:101], -v[88:89]
	v_add_f64 v[110:111], v[113:114], -v[90:91]
	;; [unrolled: 1-line block ×6, first 2 shown]
	v_add_f64 v[96:97], v[88:89], v[96:97]
	v_add_f64 v[98:99], v[90:91], v[98:99]
	;; [unrolled: 1-line block ×4, first 2 shown]
	v_add_f64 v[135:136], v[92:93], -v[129:130]
	v_add_f64 v[137:138], v[94:95], -v[106:107]
	v_mul_f64 v[119:120], v[108:109], s[2:3]
	v_mul_f64 v[121:122], v[110:111], s[2:3]
	;; [unrolled: 1-line block ×4, first 2 shown]
	v_add_f64 v[88:89], v[84:85], v[96:97]
	v_add_f64 v[90:91], v[86:87], v[98:99]
	;; [unrolled: 1-line block ×4, first 2 shown]
	v_fma_f64 v[84:85], v[131:132], s[6:7], v[119:120]
	v_fma_f64 v[86:87], v[133:134], s[6:7], v[121:122]
	;; [unrolled: 1-line block ×6, first 2 shown]
	s_mov_b32 s16, 0x37c3f68c
	s_mov_b32 s17, 0x3fdc38aa
	v_fma_f64 v[96:97], v[139:140], s[16:17], v[92:93]
	v_fma_f64 v[92:93], v[108:109], s[16:17], v[94:95]
	v_add_f64 v[94:95], v[84:85], v[110:111]
	v_add_f64 v[98:99], v[86:87], v[115:116]
	v_add_f64 v[84:85], v[94:95], -v[92:93]
	v_add_f64 v[86:87], v[96:97], v[98:99]
	s_and_saveexec_b64 s[2:3], s[0:1]
	s_cbranch_execz .LBB0_5
; %bb.4:
	v_add_f64 v[125:126], v[129:130], -v[125:126]
	v_add_f64 v[113:114], v[117:118], -v[113:114]
	;; [unrolled: 1-line block ×4, first 2 shown]
	v_mul_f64 v[133:134], v[133:134], s[6:7]
	v_mul_f64 v[129:130], v[135:136], s[14:15]
	;; [unrolled: 1-line block ×4, first 2 shown]
	s_mov_b32 s7, 0xbfebfeb5
	s_mov_b32 s6, 0x429ad128
	;; [unrolled: 1-line block ×4, first 2 shown]
	v_fma_f64 v[104:105], v[125:126], s[6:7], -v[127:128]
	v_fma_f64 v[106:107], v[113:114], s[14:15], -v[121:122]
	;; [unrolled: 1-line block ×4, first 2 shown]
	s_mov_b32 s15, 0x3fe77f67
	s_mov_b32 s7, 0x3febfeb5
	v_mul_f64 v[139:140], v[139:140], s[16:17]
	v_fma_f64 v[113:114], v[113:114], s[14:15], -v[133:134]
	v_fma_f64 v[121:122], v[125:126], s[6:7], -v[129:130]
	v_mul_f64 v[108:109], v[108:109], s[16:17]
	v_fma_f64 v[100:101], v[100:101], s[14:15], -v[131:132]
	v_fma_f64 v[102:103], v[102:103], s[6:7], -v[135:136]
	v_add_f64 v[106:107], v[106:107], v[115:116]
	v_add_f64 v[117:118], v[117:118], v[110:111]
	;; [unrolled: 1-line block ×8, first 2 shown]
	v_add_f64 v[96:97], v[98:99], -v[96:97]
	v_add_f64 v[94:95], v[92:93], v[94:95]
	v_add_f64 v[100:101], v[123:124], v[106:107]
	v_add_f64 v[104:105], v[113:114], -v[115:116]
	v_add_f64 v[108:109], v[115:116], v[113:114]
	v_add_f64 v[115:116], v[106:107], -v[123:124]
	;; [unrolled: 2-line block ×4, first 2 shown]
	ds_write_b128 v141, v[88:91]
	ds_write_b128 v141, v[94:97] offset:3072
	ds_write_b128 v141, v[113:116] offset:6144
	;; [unrolled: 1-line block ×6, first 2 shown]
.LBB0_5:
	s_or_b64 exec, exec, s[2:3]
	v_mov_b32_e32 v88, s13
	v_addc_co_u32_e32 v109, vcc, 0, v88, vcc
	s_movk_i32 s2, 0x5400
	v_add_co_u32_e32 v108, vcc, s2, v143
	s_movk_i32 s6, 0x5000
	s_mov_b64 s[2:3], vcc
	v_add_co_u32_e32 v104, vcc, s6, v143
	v_addc_co_u32_e32 v105, vcc, 0, v109, vcc
	s_movk_i32 s6, 0x7000
	v_add_co_u32_e32 v96, vcc, s6, v143
	v_addc_co_u32_e32 v97, vcc, 0, v109, vcc
	s_mov_b32 s6, 0x8000
	v_add_co_u32_e32 v98, vcc, s6, v143
	v_addc_co_u32_e32 v99, vcc, 0, v109, vcc
	s_mov_b32 s6, 0x9000
	s_waitcnt lgkmcnt(0)
	s_barrier
	global_load_dwordx4 v[88:91], v[98:99], off offset:3072
	global_load_dwordx4 v[92:95], v[96:97], off offset:3584
                                        ; kill: killed $vgpr98 killed $vgpr99
	s_nop 0
	global_load_dwordx4 v[96:99], v[96:97], off
	v_add_co_u32_e32 v100, vcc, s6, v143
	v_addc_co_u32_e32 v101, vcc, 0, v109, vcc
	global_load_dwordx4 v[100:103], v[100:101], off offset:2560
	s_nop 0
	global_load_dwordx4 v[104:107], v[104:105], off offset:1024
	v_addc_co_u32_e64 v109, vcc, 0, v109, s[2:3]
	global_load_dwordx4 v[108:111], v[108:109], off offset:3584
	ds_read_b128 v[113:116], v141 offset:10752
	ds_read_b128 v[117:120], v141
	ds_read_b128 v[121:124], v141 offset:3584
	ds_read_b128 v[125:128], v141 offset:14336
	;; [unrolled: 1-line block ×4, first 2 shown]
	s_mov_b32 s2, 0xe8584caa
	s_mov_b32 s3, 0xbfebb67a
	;; [unrolled: 1-line block ×4, first 2 shown]
	s_waitcnt vmcnt(5) lgkmcnt(2)
	v_mul_f64 v[139:140], v[127:128], v[90:91]
	s_waitcnt vmcnt(4)
	v_mul_f64 v[137:138], v[115:116], v[94:95]
	v_mul_f64 v[94:95], v[113:114], v[94:95]
	;; [unrolled: 1-line block ×3, first 2 shown]
	s_waitcnt vmcnt(3) lgkmcnt(1)
	v_mul_f64 v[166:167], v[131:132], v[98:99]
	v_mul_f64 v[98:99], v[129:130], v[98:99]
	s_waitcnt vmcnt(2) lgkmcnt(0)
	v_mul_f64 v[168:169], v[135:136], v[102:103]
	v_mul_f64 v[102:103], v[133:134], v[102:103]
	s_waitcnt vmcnt(1)
	v_mul_f64 v[170:171], v[119:120], v[106:107]
	v_mul_f64 v[106:107], v[117:118], v[106:107]
	s_waitcnt vmcnt(0)
	v_mul_f64 v[172:173], v[123:124], v[110:111]
	v_mul_f64 v[110:111], v[121:122], v[110:111]
	v_fma_f64 v[90:91], v[113:114], v[92:93], -v[137:138]
	v_fma_f64 v[92:93], v[115:116], v[92:93], v[94:95]
	v_fma_f64 v[113:114], v[125:126], v[88:89], -v[139:140]
	v_fma_f64 v[115:116], v[127:128], v[88:89], v[164:165]
	;; [unrolled: 2-line block ×6, first 2 shown]
	ds_write_b128 v141, v[90:93] offset:10752
	ds_write_b128 v141, v[113:116] offset:14336
	;; [unrolled: 1-line block ×4, first 2 shown]
	ds_write_b128 v141, v[102:105]
	ds_write_b128 v141, v[106:109] offset:3584
	s_waitcnt lgkmcnt(0)
	s_barrier
	ds_read_b128 v[88:91], v141 offset:10752
	ds_read_b128 v[92:95], v141
	ds_read_b128 v[96:99], v141 offset:3584
	ds_read_b128 v[100:103], v141 offset:14336
	;; [unrolled: 1-line block ×4, first 2 shown]
	s_waitcnt lgkmcnt(4)
	v_add_f64 v[88:89], v[92:93], -v[88:89]
	v_add_f64 v[90:91], v[94:95], -v[90:91]
	s_waitcnt lgkmcnt(2)
	v_add_f64 v[100:101], v[96:97], -v[100:101]
	v_add_f64 v[102:103], v[98:99], -v[102:103]
	;; [unrolled: 3-line block ×3, first 2 shown]
	s_barrier
	v_fma_f64 v[92:93], v[92:93], 2.0, -v[88:89]
	v_fma_f64 v[94:95], v[94:95], 2.0, -v[90:91]
	v_fma_f64 v[96:97], v[96:97], 2.0, -v[100:101]
	v_fma_f64 v[98:99], v[98:99], 2.0, -v[102:103]
	v_fma_f64 v[104:105], v[104:105], 2.0, -v[108:109]
	v_fma_f64 v[106:107], v[106:107], 2.0, -v[110:111]
	ds_write_b128 v144, v[88:91] offset:16
	ds_write_b128 v144, v[92:95]
	ds_write_b128 v145, v[96:99]
	ds_write_b128 v145, v[100:103] offset:16
	ds_write_b128 v146, v[104:107]
	ds_write_b128 v146, v[108:111] offset:16
	s_waitcnt lgkmcnt(0)
	s_barrier
	ds_read_b128 v[88:91], v141 offset:10752
	ds_read_b128 v[92:95], v141 offset:14336
	ds_read_b128 v[96:99], v141 offset:7168
	ds_read_b128 v[100:103], v141 offset:17920
	ds_read_b128 v[104:107], v141
	ds_read_b128 v[108:111], v141 offset:3584
	s_waitcnt lgkmcnt(5)
	v_mul_f64 v[113:114], v[26:27], v[90:91]
	v_mul_f64 v[115:116], v[26:27], v[88:89]
	s_waitcnt lgkmcnt(4)
	v_mul_f64 v[117:118], v[26:27], v[94:95]
	v_mul_f64 v[119:120], v[26:27], v[92:93]
	s_waitcnt lgkmcnt(2)
	v_mul_f64 v[121:122], v[26:27], v[102:103]
	v_mul_f64 v[26:27], v[26:27], v[100:101]
	s_waitcnt lgkmcnt(0)
	s_barrier
	v_fma_f64 v[88:89], v[24:25], v[88:89], v[113:114]
	v_fma_f64 v[90:91], v[24:25], v[90:91], -v[115:116]
	v_fma_f64 v[92:93], v[24:25], v[92:93], v[117:118]
	v_fma_f64 v[94:95], v[24:25], v[94:95], -v[119:120]
	v_fma_f64 v[100:101], v[24:25], v[100:101], v[121:122]
	v_fma_f64 v[102:103], v[24:25], v[102:103], -v[26:27]
	v_add_f64 v[24:25], v[104:105], -v[88:89]
	v_add_f64 v[26:27], v[106:107], -v[90:91]
	v_add_f64 v[88:89], v[108:109], -v[92:93]
	v_add_f64 v[90:91], v[110:111], -v[94:95]
	v_add_f64 v[92:93], v[96:97], -v[100:101]
	v_add_f64 v[94:95], v[98:99], -v[102:103]
	v_fma_f64 v[100:101], v[104:105], 2.0, -v[24:25]
	v_fma_f64 v[102:103], v[106:107], 2.0, -v[26:27]
	v_fma_f64 v[104:105], v[108:109], 2.0, -v[88:89]
	v_fma_f64 v[106:107], v[110:111], 2.0, -v[90:91]
	v_fma_f64 v[96:97], v[96:97], 2.0, -v[92:93]
	v_fma_f64 v[98:99], v[98:99], 2.0, -v[94:95]
	ds_write_b128 v147, v[24:27] offset:32
	ds_write_b128 v147, v[100:103]
	ds_write_b128 v149, v[104:107]
	ds_write_b128 v149, v[88:91] offset:32
	ds_write_b128 v148, v[96:99]
	ds_write_b128 v148, v[92:95] offset:32
	s_waitcnt lgkmcnt(0)
	s_barrier
	ds_read_b128 v[24:27], v141 offset:10752
	ds_read_b128 v[88:91], v141 offset:14336
	ds_read_b128 v[92:95], v141 offset:7168
	ds_read_b128 v[96:99], v141 offset:17920
	ds_read_b128 v[100:103], v141
	ds_read_b128 v[104:107], v141 offset:3584
	s_waitcnt lgkmcnt(5)
	v_mul_f64 v[108:109], v[30:31], v[26:27]
	v_mul_f64 v[110:111], v[30:31], v[24:25]
	s_waitcnt lgkmcnt(4)
	v_mul_f64 v[113:114], v[30:31], v[90:91]
	v_mul_f64 v[115:116], v[30:31], v[88:89]
	s_waitcnt lgkmcnt(2)
	v_mul_f64 v[117:118], v[30:31], v[98:99]
	v_mul_f64 v[30:31], v[30:31], v[96:97]
	s_waitcnt lgkmcnt(0)
	s_barrier
	v_fma_f64 v[24:25], v[28:29], v[24:25], v[108:109]
	v_fma_f64 v[26:27], v[28:29], v[26:27], -v[110:111]
	v_fma_f64 v[88:89], v[28:29], v[88:89], v[113:114]
	v_fma_f64 v[90:91], v[28:29], v[90:91], -v[115:116]
	v_fma_f64 v[96:97], v[28:29], v[96:97], v[117:118]
	v_fma_f64 v[98:99], v[28:29], v[98:99], -v[30:31]
	v_add_f64 v[24:25], v[100:101], -v[24:25]
	v_add_f64 v[26:27], v[102:103], -v[26:27]
	v_add_f64 v[28:29], v[104:105], -v[88:89]
	v_add_f64 v[30:31], v[106:107], -v[90:91]
	v_add_f64 v[88:89], v[92:93], -v[96:97]
	v_add_f64 v[90:91], v[94:95], -v[98:99]
	;; [unrolled: 43-line block ×5, first 2 shown]
	v_fma_f64 v[40:41], v[88:89], 2.0, -v[24:25]
	v_fma_f64 v[42:43], v[90:91], 2.0, -v[26:27]
	;; [unrolled: 1-line block ×6, first 2 shown]
	ds_write_b128 v159, v[40:43]
	ds_write_b128 v159, v[24:27] offset:512
	ds_write_b128 v162, v[88:91]
	ds_write_b128 v162, v[28:31] offset:512
	;; [unrolled: 2-line block ×3, first 2 shown]
	s_waitcnt lgkmcnt(0)
	s_barrier
	ds_read_b128 v[24:27], v141 offset:7168
	ds_read_b128 v[28:31], v141 offset:14336
	;; [unrolled: 1-line block ×4, first 2 shown]
	s_waitcnt lgkmcnt(3)
	v_mul_f64 v[40:41], v[46:47], v[26:27]
	s_waitcnt lgkmcnt(2)
	v_mul_f64 v[42:43], v[54:55], v[30:31]
	v_mul_f64 v[46:47], v[46:47], v[24:25]
	v_fma_f64 v[92:93], v[44:45], v[24:25], v[40:41]
	v_fma_f64 v[94:95], v[52:53], v[28:29], v[42:43]
	v_mul_f64 v[24:25], v[54:55], v[28:29]
	v_fma_f64 v[26:27], v[44:45], v[26:27], -v[46:47]
	s_waitcnt lgkmcnt(1)
	v_mul_f64 v[28:29], v[50:51], v[34:35]
	s_waitcnt lgkmcnt(0)
	v_mul_f64 v[46:47], v[58:59], v[38:39]
	ds_read_b128 v[40:43], v141
	ds_read_b128 v[88:91], v141 offset:3584
	s_waitcnt lgkmcnt(0)
	s_barrier
	v_add_f64 v[44:45], v[92:93], v[94:95]
	v_fma_f64 v[30:31], v[52:53], v[30:31], -v[24:25]
	v_mul_f64 v[24:25], v[50:51], v[32:33]
	v_mul_f64 v[50:51], v[58:59], v[36:37]
	v_add_f64 v[52:53], v[40:41], v[92:93]
	v_fma_f64 v[54:55], v[48:49], v[32:33], v[28:29]
	v_fma_f64 v[36:37], v[56:57], v[36:37], v[46:47]
	v_fma_f64 v[32:33], v[44:45], -0.5, v[40:41]
	v_add_f64 v[40:41], v[26:27], -v[30:31]
	v_fma_f64 v[34:35], v[48:49], v[34:35], -v[24:25]
	v_fma_f64 v[38:39], v[56:57], v[38:39], -v[50:51]
	v_add_f64 v[44:45], v[26:27], v[30:31]
	v_add_f64 v[24:25], v[52:53], v[94:95]
	;; [unrolled: 1-line block ×5, first 2 shown]
	v_fma_f64 v[28:29], v[40:41], s[2:3], v[32:33]
	v_fma_f64 v[32:33], v[40:41], s[6:7], v[32:33]
	v_add_f64 v[40:41], v[34:35], v[38:39]
	v_fma_f64 v[42:43], v[44:45], -0.5, v[42:43]
	v_add_f64 v[44:45], v[92:93], -v[94:95]
	v_fma_f64 v[46:47], v[46:47], -0.5, v[88:89]
	v_add_f64 v[50:51], v[34:35], -v[38:39]
	v_add_f64 v[52:53], v[90:91], v[34:35]
	v_add_f64 v[54:55], v[54:55], -v[36:37]
	v_add_f64 v[26:27], v[26:27], v[30:31]
	v_fma_f64 v[56:57], v[40:41], -0.5, v[90:91]
	v_add_f64 v[36:37], v[48:49], v[36:37]
	v_fma_f64 v[30:31], v[44:45], s[6:7], v[42:43]
	v_fma_f64 v[34:35], v[44:45], s[2:3], v[42:43]
	;; [unrolled: 1-line block ×4, first 2 shown]
	v_add_f64 v[38:39], v[52:53], v[38:39]
	v_fma_f64 v[42:43], v[54:55], s[6:7], v[56:57]
	v_fma_f64 v[46:47], v[54:55], s[2:3], v[56:57]
	ds_write_b128 v163, v[24:27]
	ds_write_b128 v163, v[28:31] offset:1024
	ds_write_b128 v163, v[32:35] offset:2048
	ds_write_b128 v160, v[36:39]
	ds_write_b128 v160, v[40:43] offset:1024
	ds_write_b128 v160, v[44:47] offset:2048
	s_waitcnt lgkmcnt(0)
	s_barrier
	s_and_saveexec_b64 s[2:3], s[0:1]
	s_cbranch_execz .LBB0_7
; %bb.6:
	ds_read_b128 v[24:27], v141
	ds_read_b128 v[28:31], v141 offset:3072
	ds_read_b128 v[32:35], v141 offset:6144
	ds_read_b128 v[36:39], v141 offset:9216
	ds_read_b128 v[40:43], v141 offset:12288
	ds_read_b128 v[44:47], v141 offset:15360
	ds_read_b128 v[84:87], v141 offset:18432
.LBB0_7:
	s_or_b64 exec, exec, s[2:3]
	s_and_saveexec_b64 s[2:3], s[0:1]
	s_cbranch_execz .LBB0_9
; %bb.8:
	s_waitcnt lgkmcnt(5)
	v_mul_f64 v[48:49], v[70:71], v[30:31]
	s_waitcnt lgkmcnt(0)
	v_mul_f64 v[50:51], v[78:79], v[86:87]
	v_mul_f64 v[52:53], v[62:63], v[42:43]
	;; [unrolled: 1-line block ×9, first 2 shown]
	v_fma_f64 v[52:53], v[60:61], v[40:41], v[52:53]
	v_fma_f64 v[54:55], v[64:65], v[36:37], v[54:55]
	;; [unrolled: 1-line block ×3, first 2 shown]
	v_mul_f64 v[36:37], v[66:67], v[36:37]
	v_fma_f64 v[56:57], v[76:77], v[86:87], -v[78:79]
	v_fma_f64 v[30:31], v[68:69], v[30:31], -v[70:71]
	;; [unrolled: 1-line block ×4, first 2 shown]
	v_mul_f64 v[40:41], v[62:63], v[40:41]
	v_fma_f64 v[44:45], v[80:81], v[44:45], v[58:59]
	v_fma_f64 v[28:29], v[68:69], v[28:29], v[48:49]
	;; [unrolled: 1-line block ×3, first 2 shown]
	v_fma_f64 v[36:37], v[64:65], v[38:39], -v[36:37]
	v_add_f64 v[62:63], v[30:31], v[56:57]
	v_add_f64 v[50:51], v[52:53], -v[54:55]
	v_add_f64 v[66:67], v[34:35], v[46:47]
	v_fma_f64 v[38:39], v[60:61], v[42:43], -v[40:41]
	v_add_f64 v[58:59], v[32:33], -v[44:45]
	s_mov_b32 s12, 0x37e14327
	v_add_f64 v[40:41], v[28:29], -v[48:49]
	s_mov_b32 s13, 0x3fe948f6
	v_add_f64 v[28:29], v[28:29], v[48:49]
	v_add_f64 v[32:33], v[32:33], v[44:45]
	;; [unrolled: 1-line block ×4, first 2 shown]
	v_add_f64 v[42:43], v[50:51], -v[58:59]
	v_add_f64 v[36:37], v[38:39], -v[36:37]
	;; [unrolled: 1-line block ×3, first 2 shown]
	v_add_f64 v[50:51], v[50:51], v[58:59]
	v_add_f64 v[34:35], v[34:35], -v[46:47]
	s_mov_b32 s14, 0xaaaaaaaa
	s_mov_b32 s16, 0x36b3c0b5
	v_add_f64 v[60:61], v[64:65], v[60:61]
	v_add_f64 v[70:71], v[62:63], -v[64:65]
	v_add_f64 v[64:65], v[64:65], -v[66:67]
	s_mov_b32 s15, 0xbff2aaaa
	v_add_f64 v[48:49], v[50:51], v[40:41]
	s_mov_b32 s17, 0x3fac98ee
	v_add_f64 v[52:53], v[54:55], v[52:53]
	v_add_f64 v[56:57], v[30:31], -v[56:57]
	v_add_f64 v[26:27], v[26:27], v[60:61]
	v_mul_f64 v[50:51], v[70:71], s[12:13]
	v_add_f64 v[70:71], v[32:33], v[28:29]
	v_add_f64 v[30:31], v[36:37], -v[34:35]
	v_add_f64 v[40:41], v[58:59], -v[40:41]
	s_mov_b32 s6, 0xe976ee23
	s_mov_b32 s7, 0x3fe11646
	v_mul_f64 v[42:43], v[42:43], s[6:7]
	v_fma_f64 v[54:55], v[60:61], s[14:15], v[26:27]
	v_fma_f64 v[38:39], v[64:65], s[16:17], v[50:51]
	v_add_f64 v[46:47], v[52:53], v[70:71]
	v_add_f64 v[60:61], v[28:29], -v[52:53]
	v_add_f64 v[58:59], v[56:57], -v[36:37]
	;; [unrolled: 1-line block ×4, first 2 shown]
	s_mov_b32 s1, 0xbfd5d0dc
	s_mov_b32 s0, 0xb247c609
	v_add_f64 v[70:71], v[38:39], v[54:55]
	v_add_f64 v[38:39], v[52:53], -v[32:33]
	v_mul_f64 v[52:53], v[64:65], s[16:17]
	v_mul_f64 v[64:65], v[30:31], s[6:7]
	s_mov_b32 s6, 0x429ad128
	s_mov_b32 s7, 0xbfebfeb5
	v_mul_f64 v[74:75], v[40:41], s[6:7]
	v_mul_f64 v[60:61], v[60:61], s[12:13]
	v_add_f64 v[28:29], v[32:33], -v[28:29]
	v_fma_f64 v[44:45], v[68:69], s[0:1], v[42:43]
	v_add_f64 v[24:25], v[24:25], v[46:47]
	v_fma_f64 v[76:77], v[58:59], s[0:1], v[64:65]
	v_add_f64 v[32:33], v[36:37], v[34:35]
	s_mov_b32 s1, 0x3fd5d0dc
	s_mov_b32 s13, 0xbfe77f67
	;; [unrolled: 1-line block ×3, first 2 shown]
	v_fma_f64 v[34:35], v[68:69], s[0:1], -v[74:75]
	v_fma_f64 v[36:37], v[62:63], s[12:13], -v[50:51]
	v_mul_f64 v[50:51], v[66:67], s[6:7]
	v_mul_f64 v[72:73], v[38:39], s[16:17]
	s_mov_b32 s18, 0x37c3f68c
	v_fma_f64 v[38:39], v[38:39], s[16:17], v[60:61]
	v_fma_f64 v[60:61], v[28:29], s[12:13], -v[60:61]
	s_mov_b32 s13, 0x3fe77f67
	s_mov_b32 s19, 0xbfdc38aa
	v_fma_f64 v[46:47], v[46:47], s[14:15], v[24:25]
	v_fma_f64 v[52:53], v[62:63], s[12:13], -v[52:53]
	v_fma_f64 v[40:41], v[40:41], s[6:7], -v[42:43]
	v_add_f64 v[32:33], v[32:33], v[56:57]
	v_fma_f64 v[56:57], v[48:49], s[18:19], v[34:35]
	v_fma_f64 v[34:35], v[58:59], s[0:1], -v[50:51]
	v_fma_f64 v[28:29], v[28:29], s[12:13], -v[72:73]
	;; [unrolled: 1-line block ×3, first 2 shown]
	v_fma_f64 v[44:45], v[48:49], s[18:19], v[44:45]
	v_add_f64 v[36:37], v[36:37], v[54:55]
	v_add_f64 v[50:51], v[52:53], v[54:55]
	v_fma_f64 v[40:41], v[48:49], s[18:19], v[40:41]
	v_add_f64 v[52:53], v[38:39], v[46:47]
	v_fma_f64 v[54:55], v[32:33], s[18:19], v[76:77]
	;; [unrolled: 2-line block ×4, first 2 shown]
	v_add_f64 v[30:31], v[44:45], v[70:71]
	v_add_f64 v[38:39], v[50:51], -v[40:41]
	v_add_f64 v[42:43], v[40:41], v[50:51]
	v_add_f64 v[50:51], v[70:71], -v[44:45]
	;; [unrolled: 2-line block ×4, first 2 shown]
	v_add_f64 v[34:35], v[56:57], v[36:37]
	v_add_f64 v[36:37], v[32:33], v[28:29]
	v_add_f64 v[32:33], v[58:59], -v[60:61]
	v_add_f64 v[28:29], v[52:53], -v[54:55]
	ds_write_b128 v141, v[24:27]
	ds_write_b128 v141, v[48:51] offset:3072
	ds_write_b128 v141, v[44:47] offset:6144
	;; [unrolled: 1-line block ×6, first 2 shown]
.LBB0_9:
	s_or_b64 exec, exec, s[2:3]
	s_waitcnt lgkmcnt(0)
	s_barrier
	ds_read_b128 v[24:27], v141
	ds_read_b128 v[28:31], v141 offset:3584
	v_mad_u64_u32 v[36:37], s[0:1], s10, v112, 0
	v_mov_b32_e32 v42, s5
	s_waitcnt lgkmcnt(1)
	v_mul_f64 v[33:34], v[22:23], v[26:27]
	v_mul_f64 v[22:23], v[22:23], v[24:25]
	v_mov_b32_e32 v32, v37
	s_mul_i32 s5, s8, 0x2a00
	v_mad_u64_u32 v[37:38], s[0:1], s11, v112, v[32:33]
	v_mad_u64_u32 v[38:39], s[0:1], s8, v142, 0
	v_fma_f64 v[24:25], v[20:21], v[24:25], v[33:34]
	v_fma_f64 v[26:27], v[20:21], v[26:27], -v[22:23]
	v_mov_b32_e32 v20, v39
	v_mad_u64_u32 v[32:33], s[2:3], s9, v142, v[20:21]
	ds_read_b128 v[20:23], v141 offset:10752
	s_mov_b32 s0, 0x18618618
	v_mov_b32_e32 v39, v32
	ds_read_b128 v[32:35], v141 offset:7168
	s_mov_b32 s1, 0x3f486186
	s_waitcnt lgkmcnt(1)
	v_mul_f64 v[40:41], v[2:3], v[22:23]
	v_mul_f64 v[2:3], v[2:3], v[20:21]
	;; [unrolled: 1-line block ×4, first 2 shown]
	v_lshlrev_b64 v[36:37], 4, v[36:37]
	s_mul_i32 s2, s9, 0x2a00
	v_add_co_u32_e32 v43, vcc, s4, v36
	v_fma_f64 v[20:21], v[0:1], v[20:21], v[40:41]
	v_fma_f64 v[2:3], v[0:1], v[22:23], -v[2:3]
	v_addc_co_u32_e32 v42, vcc, v42, v37, vcc
	v_lshlrev_b64 v[36:37], 4, v[38:39]
	s_mul_hi_u32 s3, s8, 0x2a00
	v_add_co_u32_e32 v22, vcc, v43, v36
	v_mul_f64 v[0:1], v[20:21], s[0:1]
	v_mul_f64 v[20:21], v[6:7], v[30:31]
	;; [unrolled: 1-line block ×3, first 2 shown]
	v_addc_co_u32_e32 v23, vcc, v42, v37, vcc
	v_mul_f64 v[6:7], v[6:7], v[28:29]
	s_add_i32 s4, s3, s2
	global_store_dwordx4 v[22:23], v[24:27], off
	v_fma_f64 v[20:21], v[4:5], v[28:29], v[20:21]
	v_mov_b32_e32 v25, s4
	v_add_co_u32_e32 v24, vcc, s5, v22
	v_addc_co_u32_e32 v25, vcc, v23, v25, vcc
	global_store_dwordx4 v[24:25], v[0:3], off
	ds_read_b128 v[0:3], v141 offset:14336
	v_fma_f64 v[6:7], v[4:5], v[30:31], -v[6:7]
	v_mul_f64 v[4:5], v[20:21], s[0:1]
	ds_read_b128 v[20:23], v141 offset:17920
	s_waitcnt lgkmcnt(2)
	v_mul_f64 v[28:29], v[14:15], v[34:35]
	s_waitcnt lgkmcnt(1)
	v_mul_f64 v[26:27], v[10:11], v[2:3]
	v_mul_f64 v[10:11], v[10:11], v[0:1]
	;; [unrolled: 1-line block ×3, first 2 shown]
	v_mov_b32_e32 v30, 0xffffe400
	v_mul_f64 v[6:7], v[6:7], s[0:1]
	v_mad_u64_u32 v[24:25], s[2:3], s8, v30, v[24:25]
	s_mul_i32 s2, s9, 0xffffe400
	v_fma_f64 v[0:1], v[8:9], v[0:1], v[26:27]
	v_fma_f64 v[2:3], v[8:9], v[2:3], -v[10:11]
	v_fma_f64 v[8:9], v[12:13], v[32:33], v[28:29]
	v_fma_f64 v[10:11], v[12:13], v[34:35], -v[14:15]
	s_waitcnt lgkmcnt(0)
	v_mul_f64 v[12:13], v[18:19], v[22:23]
	v_mul_f64 v[14:15], v[18:19], v[20:21]
	s_sub_i32 s6, s2, s8
	v_add_u32_e32 v25, s6, v25
	global_store_dwordx4 v[24:25], v[4:7], off
	v_mul_f64 v[0:1], v[0:1], s[0:1]
	v_mul_f64 v[2:3], v[2:3], s[0:1]
	;; [unrolled: 1-line block ×4, first 2 shown]
	v_fma_f64 v[8:9], v[16:17], v[20:21], v[12:13]
	v_fma_f64 v[10:11], v[16:17], v[22:23], -v[14:15]
	v_mov_b32_e32 v18, s4
	v_add_co_u32_e32 v12, vcc, s5, v24
	v_addc_co_u32_e32 v13, vcc, v25, v18, vcc
	global_store_dwordx4 v[12:13], v[0:3], off
	v_mad_u64_u32 v[14:15], s[2:3], s8, v30, v[12:13]
	v_mul_f64 v[0:1], v[8:9], s[0:1]
	v_mul_f64 v[2:3], v[10:11], s[0:1]
	v_add_u32_e32 v15, s6, v15
	global_store_dwordx4 v[14:15], v[4:7], off
	s_nop 0
	v_mov_b32_e32 v5, s4
	v_add_co_u32_e32 v4, vcc, s5, v14
	v_addc_co_u32_e32 v5, vcc, v15, v5, vcc
	global_store_dwordx4 v[4:5], v[0:3], off
.LBB0_10:
	s_endpgm
	.section	.rodata,"a",@progbits
	.p2align	6, 0x0
	.amdhsa_kernel bluestein_single_back_len1344_dim1_dp_op_CI_CI
		.amdhsa_group_segment_fixed_size 21504
		.amdhsa_private_segment_fixed_size 0
		.amdhsa_kernarg_size 104
		.amdhsa_user_sgpr_count 6
		.amdhsa_user_sgpr_private_segment_buffer 1
		.amdhsa_user_sgpr_dispatch_ptr 0
		.amdhsa_user_sgpr_queue_ptr 0
		.amdhsa_user_sgpr_kernarg_segment_ptr 1
		.amdhsa_user_sgpr_dispatch_id 0
		.amdhsa_user_sgpr_flat_scratch_init 0
		.amdhsa_user_sgpr_private_segment_size 0
		.amdhsa_uses_dynamic_stack 0
		.amdhsa_system_sgpr_private_segment_wavefront_offset 0
		.amdhsa_system_sgpr_workgroup_id_x 1
		.amdhsa_system_sgpr_workgroup_id_y 0
		.amdhsa_system_sgpr_workgroup_id_z 0
		.amdhsa_system_sgpr_workgroup_info 0
		.amdhsa_system_vgpr_workitem_id 0
		.amdhsa_next_free_vgpr 174
		.amdhsa_next_free_sgpr 20
		.amdhsa_reserve_vcc 1
		.amdhsa_reserve_flat_scratch 0
		.amdhsa_float_round_mode_32 0
		.amdhsa_float_round_mode_16_64 0
		.amdhsa_float_denorm_mode_32 3
		.amdhsa_float_denorm_mode_16_64 3
		.amdhsa_dx10_clamp 1
		.amdhsa_ieee_mode 1
		.amdhsa_fp16_overflow 0
		.amdhsa_exception_fp_ieee_invalid_op 0
		.amdhsa_exception_fp_denorm_src 0
		.amdhsa_exception_fp_ieee_div_zero 0
		.amdhsa_exception_fp_ieee_overflow 0
		.amdhsa_exception_fp_ieee_underflow 0
		.amdhsa_exception_fp_ieee_inexact 0
		.amdhsa_exception_int_div_zero 0
	.end_amdhsa_kernel
	.text
.Lfunc_end0:
	.size	bluestein_single_back_len1344_dim1_dp_op_CI_CI, .Lfunc_end0-bluestein_single_back_len1344_dim1_dp_op_CI_CI
                                        ; -- End function
	.section	.AMDGPU.csdata,"",@progbits
; Kernel info:
; codeLenInByte = 9256
; NumSgprs: 24
; NumVgprs: 174
; ScratchSize: 0
; MemoryBound: 0
; FloatMode: 240
; IeeeMode: 1
; LDSByteSize: 21504 bytes/workgroup (compile time only)
; SGPRBlocks: 2
; VGPRBlocks: 43
; NumSGPRsForWavesPerEU: 24
; NumVGPRsForWavesPerEU: 174
; Occupancy: 1
; WaveLimiterHint : 1
; COMPUTE_PGM_RSRC2:SCRATCH_EN: 0
; COMPUTE_PGM_RSRC2:USER_SGPR: 6
; COMPUTE_PGM_RSRC2:TRAP_HANDLER: 0
; COMPUTE_PGM_RSRC2:TGID_X_EN: 1
; COMPUTE_PGM_RSRC2:TGID_Y_EN: 0
; COMPUTE_PGM_RSRC2:TGID_Z_EN: 0
; COMPUTE_PGM_RSRC2:TIDIG_COMP_CNT: 0
	.type	__hip_cuid_52bcce36d7066159,@object ; @__hip_cuid_52bcce36d7066159
	.section	.bss,"aw",@nobits
	.globl	__hip_cuid_52bcce36d7066159
__hip_cuid_52bcce36d7066159:
	.byte	0                               ; 0x0
	.size	__hip_cuid_52bcce36d7066159, 1

	.ident	"AMD clang version 19.0.0git (https://github.com/RadeonOpenCompute/llvm-project roc-6.4.0 25133 c7fe45cf4b819c5991fe208aaa96edf142730f1d)"
	.section	".note.GNU-stack","",@progbits
	.addrsig
	.addrsig_sym __hip_cuid_52bcce36d7066159
	.amdgpu_metadata
---
amdhsa.kernels:
  - .args:
      - .actual_access:  read_only
        .address_space:  global
        .offset:         0
        .size:           8
        .value_kind:     global_buffer
      - .actual_access:  read_only
        .address_space:  global
        .offset:         8
        .size:           8
        .value_kind:     global_buffer
      - .actual_access:  read_only
        .address_space:  global
        .offset:         16
        .size:           8
        .value_kind:     global_buffer
      - .actual_access:  read_only
        .address_space:  global
        .offset:         24
        .size:           8
        .value_kind:     global_buffer
      - .actual_access:  read_only
        .address_space:  global
        .offset:         32
        .size:           8
        .value_kind:     global_buffer
      - .offset:         40
        .size:           8
        .value_kind:     by_value
      - .address_space:  global
        .offset:         48
        .size:           8
        .value_kind:     global_buffer
      - .address_space:  global
        .offset:         56
        .size:           8
        .value_kind:     global_buffer
      - .address_space:  global
        .offset:         64
        .size:           8
        .value_kind:     global_buffer
      - .address_space:  global
        .offset:         72
        .size:           8
        .value_kind:     global_buffer
      - .offset:         80
        .size:           4
        .value_kind:     by_value
      - .address_space:  global
        .offset:         88
        .size:           8
        .value_kind:     global_buffer
      - .address_space:  global
        .offset:         96
        .size:           8
        .value_kind:     global_buffer
    .group_segment_fixed_size: 21504
    .kernarg_segment_align: 8
    .kernarg_segment_size: 104
    .language:       OpenCL C
    .language_version:
      - 2
      - 0
    .max_flat_workgroup_size: 224
    .name:           bluestein_single_back_len1344_dim1_dp_op_CI_CI
    .private_segment_fixed_size: 0
    .sgpr_count:     24
    .sgpr_spill_count: 0
    .symbol:         bluestein_single_back_len1344_dim1_dp_op_CI_CI.kd
    .uniform_work_group_size: 1
    .uses_dynamic_stack: false
    .vgpr_count:     174
    .vgpr_spill_count: 0
    .wavefront_size: 64
amdhsa.target:   amdgcn-amd-amdhsa--gfx906
amdhsa.version:
  - 1
  - 2
...

	.end_amdgpu_metadata
